;; amdgpu-corpus repo=ROCm/rocFFT kind=compiled arch=gfx1030 opt=O3
	.text
	.amdgcn_target "amdgcn-amd-amdhsa--gfx1030"
	.amdhsa_code_object_version 6
	.protected	bluestein_single_back_len875_dim1_dp_op_CI_CI ; -- Begin function bluestein_single_back_len875_dim1_dp_op_CI_CI
	.globl	bluestein_single_back_len875_dim1_dp_op_CI_CI
	.p2align	8
	.type	bluestein_single_back_len875_dim1_dp_op_CI_CI,@function
bluestein_single_back_len875_dim1_dp_op_CI_CI: ; @bluestein_single_back_len875_dim1_dp_op_CI_CI
; %bb.0:
	s_load_dwordx4 s[0:3], s[4:5], 0x28
	v_mul_u32_u24_e32 v1, 0x177, v0
	v_mov_b32_e32 v77, 0
	v_lshrrev_b32_e32 v1, 16, v1
	v_add_nc_u32_e32 v76, s6, v1
	s_waitcnt lgkmcnt(0)
	v_cmp_gt_u64_e32 vcc_lo, s[0:1], v[76:77]
	s_and_saveexec_b32 s0, vcc_lo
	s_cbranch_execz .LBB0_15
; %bb.1:
	s_clause 0x1
	s_load_dwordx2 s[14:15], s[4:5], 0x0
	s_load_dwordx2 s[12:13], s[4:5], 0x38
	v_mul_lo_u16 v1, 0xaf, v1
	v_sub_nc_u16 v0, v0, v1
	v_and_b32_e32 v78, 0xffff, v0
	v_cmp_gt_u16_e32 vcc_lo, 0x7d, v0
	v_lshlrev_b32_e32 v77, 4, v78
	s_and_saveexec_b32 s1, vcc_lo
	s_cbranch_execz .LBB0_3
; %bb.2:
	s_load_dwordx2 s[6:7], s[4:5], 0x18
	s_waitcnt lgkmcnt(0)
	v_add_co_u32 v20, s0, s14, v77
	v_add_co_ci_u32_e64 v21, null, s15, 0, s0
	v_add_co_u32 v10, s0, 0x800, v20
	v_add_co_ci_u32_e64 v11, s0, 0, v21, s0
	v_add_co_u32 v48, s0, 0x2800, v20
	v_add_co_ci_u32_e64 v49, s0, 0, v21, s0
	s_load_dwordx4 s[8:11], s[6:7], 0x0
	s_clause 0x1
	global_load_dwordx4 v[0:3], v77, s[14:15]
	global_load_dwordx4 v[4:7], v77, s[14:15] offset:2000
	s_waitcnt lgkmcnt(0)
	v_mad_u64_u32 v[8:9], null, s10, v76, 0
	v_mad_u64_u32 v[12:13], null, s8, v78, 0
	s_mul_i32 s6, s9, 0x7d0
	s_mul_hi_u32 s7, s8, 0x7d0
	s_add_i32 s7, s7, s6
	v_mad_u64_u32 v[14:15], null, s11, v76, v[9:10]
	v_add_co_u32 v15, s0, 0x1000, v20
	v_add_co_ci_u32_e64 v16, s0, 0, v21, s0
	v_mad_u64_u32 v[17:18], null, s9, v78, v[13:14]
	v_add_co_u32 v18, s0, 0x1800, v20
	v_mov_b32_e32 v9, v14
	v_add_co_ci_u32_e64 v19, s0, 0, v21, s0
	v_add_co_u32 v40, s0, 0x2000, v20
	v_add_co_ci_u32_e64 v41, s0, 0, v21, s0
	v_mov_b32_e32 v13, v17
	v_lshlrev_b64 v[20:21], 4, v[8:9]
	global_load_dwordx4 v[8:11], v[10:11], off offset:1952
	v_lshlrev_b64 v[12:13], 4, v[12:13]
	v_add_co_u32 v14, s0, s2, v20
	v_add_co_ci_u32_e64 v17, s0, s3, v21, s0
	s_mul_i32 s2, s8, 0x7d0
	v_add_co_u32 v20, s0, v14, v12
	v_add_co_ci_u32_e64 v21, s0, v17, v13, s0
	global_load_dwordx4 v[12:15], v[15:16], off offset:1904
	v_add_co_u32 v24, s0, v20, s2
	v_add_co_ci_u32_e64 v25, s0, s7, v21, s0
	global_load_dwordx4 v[16:19], v[18:19], off offset:1856
	v_add_co_u32 v28, s0, v24, s2
	v_add_co_ci_u32_e64 v29, s0, s7, v25, s0
	s_clause 0x1
	global_load_dwordx4 v[20:23], v[20:21], off
	global_load_dwordx4 v[24:27], v[24:25], off
	v_add_co_u32 v32, s0, v28, s2
	v_add_co_ci_u32_e64 v33, s0, s7, v29, s0
	global_load_dwordx4 v[28:31], v[28:29], off
	v_add_co_u32 v36, s0, v32, s2
	v_add_co_ci_u32_e64 v37, s0, s7, v33, s0
	global_load_dwordx4 v[32:35], v[32:33], off
	v_add_co_u32 v44, s0, v36, s2
	v_add_co_ci_u32_e64 v45, s0, s7, v37, s0
	v_add_co_u32 v52, s0, v44, s2
	v_add_co_ci_u32_e64 v53, s0, s7, v45, s0
	global_load_dwordx4 v[36:39], v[36:37], off
	global_load_dwordx4 v[40:43], v[40:41], off offset:1808
	global_load_dwordx4 v[44:47], v[44:45], off
	global_load_dwordx4 v[48:51], v[48:49], off offset:1760
	global_load_dwordx4 v[52:55], v[52:53], off
	s_waitcnt vmcnt(8)
	v_mul_f64 v[56:57], v[22:23], v[2:3]
	v_mul_f64 v[2:3], v[20:21], v[2:3]
	s_waitcnt vmcnt(7)
	v_mul_f64 v[58:59], v[26:27], v[6:7]
	v_mul_f64 v[6:7], v[24:25], v[6:7]
	s_waitcnt vmcnt(6)
	v_mul_f64 v[60:61], v[30:31], v[10:11]
	v_mul_f64 v[10:11], v[28:29], v[10:11]
	s_waitcnt vmcnt(5)
	v_mul_f64 v[62:63], v[34:35], v[14:15]
	v_mul_f64 v[14:15], v[32:33], v[14:15]
	s_waitcnt vmcnt(4)
	v_mul_f64 v[64:65], v[38:39], v[18:19]
	v_mul_f64 v[66:67], v[36:37], v[18:19]
	s_waitcnt vmcnt(2)
	v_mul_f64 v[68:69], v[46:47], v[42:43]
	v_mul_f64 v[42:43], v[44:45], v[42:43]
	s_waitcnt vmcnt(0)
	v_mul_f64 v[70:71], v[54:55], v[50:51]
	v_mul_f64 v[50:51], v[52:53], v[50:51]
	v_fma_f64 v[18:19], v[20:21], v[0:1], v[56:57]
	v_fma_f64 v[20:21], v[22:23], v[0:1], -v[2:3]
	v_fma_f64 v[0:1], v[24:25], v[4:5], v[58:59]
	v_fma_f64 v[2:3], v[26:27], v[4:5], -v[6:7]
	;; [unrolled: 2-line block ×7, first 2 shown]
	ds_write_b128 v77, v[18:21]
	ds_write_b128 v77, v[0:3] offset:2000
	ds_write_b128 v77, v[4:7] offset:4000
	;; [unrolled: 1-line block ×6, first 2 shown]
.LBB0_3:
	s_or_b32 exec_lo, exec_lo, s1
	s_clause 0x1
	s_load_dwordx2 s[2:3], s[4:5], 0x20
	s_load_dwordx2 s[0:1], s[4:5], 0x8
	s_waitcnt lgkmcnt(0)
	s_barrier
	buffer_gl0_inv
                                        ; implicit-def: $vgpr0_vgpr1
                                        ; implicit-def: $vgpr4_vgpr5
                                        ; implicit-def: $vgpr8_vgpr9
                                        ; implicit-def: $vgpr12_vgpr13
                                        ; implicit-def: $vgpr16_vgpr17
                                        ; implicit-def: $vgpr20_vgpr21
                                        ; implicit-def: $vgpr24_vgpr25
	s_and_saveexec_b32 s4, vcc_lo
	s_cbranch_execz .LBB0_5
; %bb.4:
	ds_read_b128 v[0:3], v77
	ds_read_b128 v[4:7], v77 offset:2000
	ds_read_b128 v[8:11], v77 offset:4000
	ds_read_b128 v[12:15], v77 offset:6000
	ds_read_b128 v[16:19], v77 offset:8000
	ds_read_b128 v[20:23], v77 offset:10000
	ds_read_b128 v[24:27], v77 offset:12000
.LBB0_5:
	s_or_b32 exec_lo, exec_lo, s4
	s_waitcnt lgkmcnt(0)
	v_add_f64 v[28:29], v[4:5], v[24:25]
	v_add_f64 v[30:31], v[6:7], v[26:27]
	;; [unrolled: 1-line block ×4, first 2 shown]
	v_add_f64 v[8:9], v[8:9], -v[20:21]
	v_add_f64 v[10:11], v[10:11], -v[22:23]
	v_add_f64 v[20:21], v[12:13], v[16:17]
	v_add_f64 v[12:13], v[16:17], -v[12:13]
	v_add_f64 v[16:17], v[18:19], -v[14:15]
	v_add_f64 v[18:19], v[14:15], v[18:19]
	v_add_f64 v[22:23], v[4:5], -v[24:25]
	v_add_f64 v[26:27], v[6:7], -v[26:27]
	s_mov_b32 s6, 0xe976ee23
	s_mov_b32 s7, 0xbfe11646
	;; [unrolled: 1-line block ×8, first 2 shown]
	v_mul_lo_u16 v79, v78, 7
	s_barrier
	buffer_gl0_inv
	v_add_f64 v[4:5], v[32:33], v[28:29]
	v_add_f64 v[6:7], v[34:35], v[30:31]
	v_add_f64 v[14:15], v[28:29], -v[20:21]
	v_add_f64 v[24:25], v[12:13], -v[8:9]
	;; [unrolled: 1-line block ×6, first 2 shown]
	v_add_f64 v[50:51], v[16:17], v[10:11]
	v_add_f64 v[52:53], v[22:23], -v[12:13]
	v_add_f64 v[16:17], v[26:27], -v[16:17]
	v_add_f64 v[44:45], v[20:21], v[4:5]
	v_add_f64 v[46:47], v[18:19], v[6:7]
	v_add_f64 v[6:7], v[32:33], -v[28:29]
	v_add_f64 v[28:29], v[12:13], v[8:9]
	v_mul_f64 v[54:55], v[14:15], s[4:5]
	v_mul_f64 v[8:9], v[24:25], s[6:7]
	;; [unrolled: 1-line block ×3, first 2 shown]
	v_add_f64 v[14:15], v[34:35], -v[30:31]
	v_mul_f64 v[30:31], v[38:39], s[4:5]
	v_mul_f64 v[12:13], v[40:41], s[8:9]
	;; [unrolled: 1-line block ×3, first 2 shown]
	v_add_f64 v[20:21], v[20:21], -v[32:33]
	v_add_f64 v[24:25], v[18:19], -v[34:35]
	s_mov_b32 s4, 0x36b3c0b5
	s_mov_b32 s8, 0xaaaaaaaa
	;; [unrolled: 1-line block ×6, first 2 shown]
	v_add_f64 v[50:51], v[50:51], v[26:27]
	v_add_f64 v[0:1], v[0:1], v[44:45]
	;; [unrolled: 1-line block ×4, first 2 shown]
	v_fma_f64 v[18:19], v[6:7], s[6:7], -v[54:55]
	v_fma_f64 v[22:23], v[52:53], s[10:11], v[8:9]
	v_fma_f64 v[28:29], v[16:17], s[10:11], v[4:5]
	s_mov_b32 s11, 0xbfd5d0dc
	v_fma_f64 v[34:35], v[14:15], s[6:7], -v[30:31]
	v_fma_f64 v[36:37], v[52:53], s[10:11], -v[12:13]
	;; [unrolled: 1-line block ×3, first 2 shown]
	v_fma_f64 v[38:39], v[20:21], s[4:5], v[54:55]
	v_fma_f64 v[52:53], v[24:25], s[4:5], v[30:31]
	;; [unrolled: 1-line block ×4, first 2 shown]
	s_mov_b32 s8, 0x37c3f68c
	s_mov_b32 s9, 0x3fdc38aa
	v_fma_f64 v[26:27], v[48:49], s[8:9], v[22:23]
	v_fma_f64 v[22:23], v[50:51], s[8:9], v[28:29]
	;; [unrolled: 1-line block ×4, first 2 shown]
	v_add_f64 v[40:41], v[18:19], v[32:33]
	v_add_f64 v[46:47], v[34:35], v[44:45]
	;; [unrolled: 1-line block ×4, first 2 shown]
	v_add_f64 v[16:17], v[40:41], -v[30:31]
	v_add_f64 v[18:19], v[42:43], v[46:47]
	v_add_f64 v[36:37], v[28:29], -v[22:23]
	v_add_f64 v[38:39], v[26:27], v[34:35]
	s_and_saveexec_b32 s10, vcc_lo
	s_cbranch_execz .LBB0_7
; %bb.6:
	s_mov_b32 s7, 0x3fe77f67
	v_mul_f64 v[24:25], v[24:25], s[4:5]
	v_mul_f64 v[14:15], v[14:15], s[6:7]
	;; [unrolled: 1-line block ×6, first 2 shown]
	v_add_f64 v[8:9], v[12:13], -v[8:9]
	v_add_f64 v[4:5], v[10:11], -v[4:5]
	;; [unrolled: 1-line block ×5, first 2 shown]
	v_add_f64 v[20:21], v[48:49], v[8:9]
	v_add_f64 v[24:25], v[50:51], v[4:5]
	;; [unrolled: 1-line block ×6, first 2 shown]
	v_add_f64 v[6:7], v[46:47], -v[42:43]
	v_add_f64 v[14:15], v[12:13], -v[20:21]
	v_add_f64 v[22:23], v[20:21], v[12:13]
	v_add_f64 v[20:21], v[32:33], -v[24:25]
	v_add_f64 v[12:13], v[32:33], v[24:25]
	v_mov_b32_e32 v24, 4
	v_lshlrev_b32_sdwa v24, v24, v79 dst_sel:DWORD dst_unused:UNUSED_PAD src0_sel:DWORD src1_sel:WORD_0
	ds_write_b128 v24, v[0:3]
	ds_write_b128 v24, v[16:19] offset:80
	ds_write_b128 v24, v[8:11] offset:16
	;; [unrolled: 1-line block ×6, first 2 shown]
.LBB0_7:
	s_or_b32 exec_lo, exec_lo, s10
	v_and_b32_e32 v80, 0xff, v78
	s_load_dwordx4 s[4:7], s[2:3], 0x0
	s_waitcnt lgkmcnt(0)
	s_barrier
	buffer_gl0_inv
	v_mul_lo_u16 v0, v80, 37
	s_mov_b32 s2, 0x134454ff
	s_mov_b32 s3, 0x3fee6f0e
	;; [unrolled: 1-line block ×4, first 2 shown]
	v_lshrrev_b16 v0, 8, v0
	s_mov_b32 s10, 0x4755a5e
	s_mov_b32 s11, 0x3fe2cf23
	;; [unrolled: 1-line block ×4, first 2 shown]
	v_sub_nc_u16 v1, v78, v0
	s_mov_b32 s18, 0x372fe950
	s_mov_b32 s19, 0x3fd3c6ef
	v_lshrrev_b16 v1, 1, v1
	v_and_b32_e32 v1, 0x7f, v1
	v_add_nc_u16 v0, v1, v0
	v_lshrrev_b16 v81, 2, v0
	v_mul_lo_u16 v0, v81, 7
	v_sub_nc_u16 v0, v78, v0
	v_and_b32_e32 v82, 0xff, v0
	v_lshlrev_b32_e32 v0, 6, v82
	s_clause 0x3
	global_load_dwordx4 v[12:15], v0, s[0:1]
	global_load_dwordx4 v[8:11], v0, s[0:1] offset:16
	global_load_dwordx4 v[4:7], v0, s[0:1] offset:32
	;; [unrolled: 1-line block ×3, first 2 shown]
	ds_read_b128 v[20:23], v77 offset:2800
	ds_read_b128 v[24:27], v77 offset:5600
	;; [unrolled: 1-line block ×4, first 2 shown]
	ds_read_b128 v[40:43], v77
	s_waitcnt vmcnt(0) lgkmcnt(0)
	s_barrier
	buffer_gl0_inv
	v_mul_f64 v[44:45], v[22:23], v[14:15]
	v_mul_f64 v[46:47], v[26:27], v[10:11]
	;; [unrolled: 1-line block ×8, first 2 shown]
	v_fma_f64 v[20:21], v[20:21], v[12:13], -v[44:45]
	v_fma_f64 v[24:25], v[24:25], v[8:9], -v[46:47]
	;; [unrolled: 1-line block ×3, first 2 shown]
	v_fma_f64 v[26:27], v[26:27], v[8:9], v[54:55]
	v_fma_f64 v[30:31], v[30:31], v[4:5], v[56:57]
	;; [unrolled: 1-line block ×3, first 2 shown]
	v_fma_f64 v[32:33], v[32:33], v[0:1], -v[52:53]
	v_fma_f64 v[34:35], v[34:35], v[0:1], v[58:59]
	v_add_f64 v[52:53], v[40:41], v[20:21]
	v_add_f64 v[44:45], v[24:25], v[28:29]
	v_add_f64 v[48:49], v[26:27], v[30:31]
	v_add_f64 v[54:55], v[42:43], v[22:23]
	v_add_f64 v[46:47], v[20:21], v[32:33]
	v_add_f64 v[50:51], v[22:23], v[34:35]
	v_add_f64 v[56:57], v[22:23], -v[34:35]
	v_add_f64 v[60:61], v[20:21], -v[32:33]
	;; [unrolled: 1-line block ×9, first 2 shown]
	v_fma_f64 v[44:45], v[44:45], -0.5, v[40:41]
	v_fma_f64 v[48:49], v[48:49], -0.5, v[42:43]
	v_add_f64 v[26:27], v[54:55], v[26:27]
	v_fma_f64 v[40:41], v[46:47], -0.5, v[40:41]
	v_add_f64 v[46:47], v[24:25], -v[28:29]
	v_fma_f64 v[42:43], v[50:51], -0.5, v[42:43]
	v_add_f64 v[50:51], v[20:21], -v[24:25]
	v_add_f64 v[20:21], v[24:25], -v[20:21]
	v_add_f64 v[24:25], v[52:53], v[24:25]
	v_fma_f64 v[52:53], v[56:57], s[2:3], v[44:45]
	v_fma_f64 v[44:45], v[56:57], s[8:9], v[44:45]
	;; [unrolled: 1-line block ×8, first 2 shown]
	v_add_f64 v[50:51], v[50:51], v[62:63]
	v_add_f64 v[62:63], v[20:21], v[64:65]
	v_add_f64 v[64:65], v[66:67], v[68:69]
	v_add_f64 v[66:67], v[22:23], v[70:71]
	v_add_f64 v[20:21], v[24:25], v[28:29]
	v_add_f64 v[22:23], v[26:27], v[30:31]
	v_mul_lo_u16 v28, 0xeb, v80
	v_lshrrev_b16 v97, 13, v28
	v_fma_f64 v[24:25], v[58:59], s[10:11], v[52:53]
	v_fma_f64 v[26:27], v[58:59], s[16:17], v[44:45]
	;; [unrolled: 1-line block ×8, first 2 shown]
	v_mul_lo_u16 v48, v97, 35
	v_add_f64 v[20:21], v[20:21], v[32:33]
	v_add_f64 v[22:23], v[22:23], v[34:35]
	v_fma_f64 v[24:25], v[50:51], s[18:19], v[24:25]
	v_fma_f64 v[28:29], v[50:51], s[18:19], v[26:27]
	;; [unrolled: 1-line block ×3, first 2 shown]
	v_mov_b32_e32 v44, 35
	v_fma_f64 v[32:33], v[62:63], s[18:19], v[30:31]
	v_fma_f64 v[40:41], v[62:63], s[18:19], v[40:41]
	;; [unrolled: 1-line block ×5, first 2 shown]
	v_sub_nc_u16 v45, v78, v48
	v_mul_u32_u24_sdwa v44, v81, v44 dst_sel:DWORD dst_unused:UNUSED_PAD src0_sel:WORD_0 src1_sel:DWORD
	v_and_b32_e32 v98, 0xff, v45
	v_add_lshl_u32 v80, v44, v82, 4
	ds_write_b128 v80, v[20:23]
	ds_write_b128 v80, v[24:27] offset:112
	ds_write_b128 v80, v[32:35] offset:224
	ds_write_b128 v80, v[40:43] offset:336
	ds_write_b128 v80, v[28:31] offset:448
	v_lshlrev_b32_e32 v44, 6, v98
	s_waitcnt lgkmcnt(0)
	s_barrier
	buffer_gl0_inv
	s_clause 0x3
	global_load_dwordx4 v[32:35], v44, s[0:1] offset:448
	global_load_dwordx4 v[28:31], v44, s[0:1] offset:464
	;; [unrolled: 1-line block ×4, first 2 shown]
	ds_read_b128 v[40:43], v77 offset:2800
	ds_read_b128 v[44:47], v77 offset:5600
	;; [unrolled: 1-line block ×4, first 2 shown]
	ds_read_b128 v[56:59], v77
	s_waitcnt vmcnt(0) lgkmcnt(0)
	s_barrier
	buffer_gl0_inv
	v_mul_f64 v[60:61], v[42:43], v[34:35]
	v_mul_f64 v[62:63], v[46:47], v[30:31]
	;; [unrolled: 1-line block ×8, first 2 shown]
	v_fma_f64 v[40:41], v[40:41], v[32:33], -v[60:61]
	v_fma_f64 v[44:45], v[44:45], v[28:29], -v[62:63]
	v_fma_f64 v[46:47], v[46:47], v[28:29], v[64:65]
	v_fma_f64 v[48:49], v[48:49], v[24:25], -v[66:67]
	v_fma_f64 v[50:51], v[50:51], v[24:25], v[68:69]
	v_fma_f64 v[42:43], v[42:43], v[32:33], v[70:71]
	v_fma_f64 v[52:53], v[52:53], v[20:21], -v[72:73]
	v_fma_f64 v[54:55], v[54:55], v[20:21], v[74:75]
	v_add_f64 v[74:75], v[56:57], v[40:41]
	v_add_f64 v[60:61], v[44:45], v[48:49]
	;; [unrolled: 1-line block ×6, first 2 shown]
	v_add_f64 v[68:69], v[42:43], -v[54:55]
	v_add_f64 v[72:73], v[40:41], -v[52:53]
	;; [unrolled: 1-line block ×9, first 2 shown]
	v_fma_f64 v[60:61], v[60:61], -0.5, v[56:57]
	v_fma_f64 v[62:63], v[62:63], -0.5, v[58:59]
	v_add_f64 v[46:47], v[81:82], v[46:47]
	v_fma_f64 v[56:57], v[64:65], -0.5, v[56:57]
	v_fma_f64 v[58:59], v[66:67], -0.5, v[58:59]
	v_add_f64 v[64:65], v[40:41], -v[44:45]
	v_add_f64 v[66:67], v[52:53], -v[48:49]
	;; [unrolled: 1-line block ×3, first 2 shown]
	v_add_f64 v[44:45], v[74:75], v[44:45]
	v_fma_f64 v[74:75], v[68:69], s[2:3], v[60:61]
	v_fma_f64 v[81:82], v[72:73], s[8:9], v[62:63]
	;; [unrolled: 1-line block ×8, first 2 shown]
	v_add_f64 v[64:65], v[64:65], v[66:67]
	v_add_f64 v[66:67], v[85:86], v[87:88]
	;; [unrolled: 1-line block ×6, first 2 shown]
	v_fma_f64 v[44:45], v[70:71], s[10:11], v[74:75]
	v_fma_f64 v[46:47], v[83:84], s[16:17], v[81:82]
	;; [unrolled: 1-line block ×8, first 2 shown]
	v_lshlrev_b32_e32 v69, 6, v78
	v_mov_b32_e32 v68, 0xaf
	v_add_f64 v[40:41], v[40:41], v[52:53]
	v_add_f64 v[42:43], v[42:43], v[54:55]
	v_fma_f64 v[44:45], v[64:65], s[18:19], v[44:45]
	v_fma_f64 v[46:47], v[66:67], s[18:19], v[46:47]
	;; [unrolled: 1-line block ×8, first 2 shown]
	v_add_co_u32 v62, s0, s0, v69
	v_add_co_ci_u32_e64 v63, null, s1, 0, s0
	v_mul_u32_u24_sdwa v64, v97, v68 dst_sel:DWORD dst_unused:UNUSED_PAD src0_sel:WORD_0 src1_sel:DWORD
	v_add_co_u32 v60, s0, 0x800, v62
	v_add_co_ci_u32_e64 v61, s0, 0, v63, s0
	v_add_co_u32 v62, s0, 0xa80, v62
	v_add_lshl_u32 v81, v64, v98, 4
	v_add_co_ci_u32_e64 v63, s0, 0, v63, s0
	ds_write_b128 v81, v[40:43]
	ds_write_b128 v81, v[44:47] offset:560
	ds_write_b128 v81, v[52:55] offset:1120
	;; [unrolled: 1-line block ×4, first 2 shown]
	s_waitcnt lgkmcnt(0)
	s_barrier
	buffer_gl0_inv
	s_clause 0x3
	global_load_dwordx4 v[40:43], v[60:61], off offset:640
	global_load_dwordx4 v[48:51], v[62:63], off offset:16
	;; [unrolled: 1-line block ×4, first 2 shown]
	ds_read_b128 v[56:59], v77 offset:2800
	ds_read_b128 v[60:63], v77 offset:5600
	;; [unrolled: 1-line block ×4, first 2 shown]
	ds_read_b128 v[72:75], v77
	s_waitcnt vmcnt(3) lgkmcnt(4)
	v_mul_f64 v[82:83], v[58:59], v[42:43]
	v_mul_f64 v[84:85], v[56:57], v[42:43]
	s_waitcnt vmcnt(2) lgkmcnt(3)
	v_mul_f64 v[86:87], v[62:63], v[50:51]
	s_waitcnt vmcnt(1) lgkmcnt(2)
	v_mul_f64 v[88:89], v[66:67], v[46:47]
	v_mul_f64 v[90:91], v[64:65], v[46:47]
	;; [unrolled: 1-line block ×3, first 2 shown]
	s_waitcnt vmcnt(0) lgkmcnt(1)
	v_mul_f64 v[94:95], v[70:71], v[54:55]
	v_mul_f64 v[96:97], v[68:69], v[54:55]
	v_fma_f64 v[56:57], v[56:57], v[40:41], -v[82:83]
	v_fma_f64 v[58:59], v[58:59], v[40:41], v[84:85]
	v_fma_f64 v[60:61], v[60:61], v[48:49], -v[86:87]
	v_fma_f64 v[64:65], v[64:65], v[44:45], -v[88:89]
	v_fma_f64 v[66:67], v[66:67], v[44:45], v[90:91]
	v_fma_f64 v[62:63], v[62:63], v[48:49], v[92:93]
	v_fma_f64 v[68:69], v[68:69], v[52:53], -v[94:95]
	v_fma_f64 v[70:71], v[70:71], v[52:53], v[96:97]
	s_waitcnt lgkmcnt(0)
	v_add_f64 v[96:97], v[72:73], v[56:57]
	v_add_f64 v[98:99], v[74:75], v[58:59]
	;; [unrolled: 1-line block ×4, first 2 shown]
	v_add_f64 v[92:93], v[58:59], -v[66:67]
	v_add_f64 v[86:87], v[60:61], v[68:69]
	v_add_f64 v[88:89], v[62:63], v[70:71]
	v_add_f64 v[90:91], v[62:63], -v[70:71]
	v_add_f64 v[94:95], v[60:61], -v[68:69]
	;; [unrolled: 1-line block ×8, first 2 shown]
	v_add_f64 v[62:63], v[98:99], v[62:63]
	v_fma_f64 v[82:83], v[82:83], -0.5, v[72:73]
	v_fma_f64 v[84:85], v[84:85], -0.5, v[74:75]
	;; [unrolled: 1-line block ×4, first 2 shown]
	v_add_f64 v[86:87], v[60:61], -v[56:57]
	v_add_f64 v[88:89], v[68:69], -v[64:65]
	;; [unrolled: 1-line block ×3, first 2 shown]
	v_add_f64 v[60:61], v[96:97], v[60:61]
	v_fma_f64 v[96:97], v[90:91], s[8:9], v[82:83]
	v_fma_f64 v[98:99], v[94:95], s[2:3], v[84:85]
	;; [unrolled: 1-line block ×8, first 2 shown]
	v_add_f64 v[86:87], v[86:87], v[88:89]
	v_add_f64 v[88:89], v[102:103], v[104:105]
	;; [unrolled: 1-line block ×6, first 2 shown]
	v_fma_f64 v[60:61], v[92:93], s[10:11], v[96:97]
	v_fma_f64 v[62:63], v[100:101], s[16:17], v[98:99]
	;; [unrolled: 1-line block ×8, first 2 shown]
	v_add_f64 v[56:57], v[56:57], v[64:65]
	v_add_f64 v[58:59], v[58:59], v[66:67]
	v_fma_f64 v[64:65], v[86:87], s[18:19], v[60:61]
	v_fma_f64 v[66:67], v[88:89], s[18:19], v[62:63]
	;; [unrolled: 1-line block ×8, first 2 shown]
	ds_write_b128 v77, v[56:59]
	ds_write_b128 v77, v[60:63] offset:2800
	ds_write_b128 v77, v[64:67] offset:5600
	;; [unrolled: 1-line block ×4, first 2 shown]
	s_waitcnt lgkmcnt(0)
	s_barrier
	buffer_gl0_inv
	s_and_saveexec_b32 s1, vcc_lo
	s_cbranch_execz .LBB0_9
; %bb.8:
	v_add_co_u32 v100, s0, s14, v77
	v_add_co_ci_u32_e64 v101, null, s15, 0, s0
	v_add_co_u32 v86, s0, 0x36b0, v100
	v_add_co_ci_u32_e64 v87, s0, 0, v101, s0
	v_add_co_u32 v82, s0, 0x3000, v100
	v_add_co_ci_u32_e64 v83, s0, 0, v101, s0
	;; [unrolled: 2-line block ×6, first 2 shown]
	v_add_co_u32 v106, s0, 0x6000, v100
	s_clause 0x3
	global_load_dwordx4 v[82:85], v[82:83], off offset:1712
	global_load_dwordx4 v[86:89], v[86:87], off offset:2000
	;; [unrolled: 1-line block ×4, first 2 shown]
	v_add_co_ci_u32_e64 v107, s0, 0, v101, s0
	s_clause 0x2
	global_load_dwordx4 v[98:101], v[98:99], off offset:1520
	global_load_dwordx4 v[102:105], v[102:103], off offset:1472
	global_load_dwordx4 v[106:109], v[106:107], off offset:1424
	ds_read_b128 v[110:113], v77
	ds_read_b128 v[114:117], v77 offset:2000
	ds_read_b128 v[118:121], v77 offset:4000
	;; [unrolled: 1-line block ×6, first 2 shown]
	s_waitcnt vmcnt(6) lgkmcnt(6)
	v_mul_f64 v[138:139], v[112:113], v[84:85]
	v_mul_f64 v[84:85], v[110:111], v[84:85]
	s_waitcnt vmcnt(5) lgkmcnt(5)
	v_mul_f64 v[140:141], v[116:117], v[88:89]
	v_mul_f64 v[88:89], v[114:115], v[88:89]
	;; [unrolled: 3-line block ×7, first 2 shown]
	v_fma_f64 v[108:109], v[110:111], v[82:83], -v[138:139]
	v_fma_f64 v[110:111], v[112:113], v[82:83], v[84:85]
	v_fma_f64 v[82:83], v[114:115], v[86:87], -v[140:141]
	v_fma_f64 v[84:85], v[116:117], v[86:87], v[88:89]
	;; [unrolled: 2-line block ×7, first 2 shown]
	ds_write_b128 v77, v[108:111]
	ds_write_b128 v77, v[82:85] offset:2000
	ds_write_b128 v77, v[86:89] offset:4000
	;; [unrolled: 1-line block ×6, first 2 shown]
.LBB0_9:
	s_or_b32 exec_lo, exec_lo, s1
	s_waitcnt lgkmcnt(0)
	s_barrier
	buffer_gl0_inv
	s_and_saveexec_b32 s0, vcc_lo
	s_cbranch_execz .LBB0_11
; %bb.10:
	ds_read_b128 v[56:59], v77
	ds_read_b128 v[60:63], v77 offset:2000
	ds_read_b128 v[64:67], v77 offset:4000
	;; [unrolled: 1-line block ×6, first 2 shown]
.LBB0_11:
	s_or_b32 exec_lo, exec_lo, s0
	s_waitcnt lgkmcnt(0)
	s_barrier
	buffer_gl0_inv
	s_and_saveexec_b32 s0, vcc_lo
	s_cbranch_execz .LBB0_13
; %bb.12:
	v_add_f64 v[82:83], v[62:63], v[38:39]
	v_add_f64 v[84:85], v[66:67], v[18:19]
	;; [unrolled: 1-line block ×4, first 2 shown]
	v_add_f64 v[90:91], v[72:73], -v[68:69]
	v_add_f64 v[16:17], v[64:65], -v[16:17]
	v_add_f64 v[64:65], v[70:71], v[74:75]
	v_add_f64 v[70:71], v[74:75], -v[70:71]
	v_add_f64 v[66:67], v[66:67], -v[18:19]
	v_add_f64 v[18:19], v[68:69], v[72:73]
	v_add_f64 v[36:37], v[60:61], -v[36:37]
	v_add_f64 v[38:39], v[62:63], -v[38:39]
	s_mov_b32 s2, 0xe976ee23
	s_mov_b32 s3, 0x3fe11646
	;; [unrolled: 1-line block ×10, first 2 shown]
	v_add_f64 v[60:61], v[84:85], v[82:83]
	v_add_f64 v[62:63], v[88:89], v[86:87]
	v_add_f64 v[68:69], v[90:91], -v[16:17]
	v_add_f64 v[72:73], v[82:83], -v[64:65]
	;; [unrolled: 1-line block ×9, first 2 shown]
	v_add_f64 v[90:91], v[90:91], v[16:17]
	v_add_f64 v[102:103], v[38:39], -v[70:71]
	v_add_f64 v[60:61], v[64:65], v[60:61]
	v_add_f64 v[64:65], v[64:65], -v[84:85]
	;; [unrolled: 2-line block ×3, first 2 shown]
	v_mul_f64 v[68:69], v[68:69], s[2:3]
	v_mul_f64 v[72:73], v[72:73], s[8:9]
	;; [unrolled: 1-line block ×3, first 2 shown]
	s_mov_b32 s2, 0x36b3c0b5
	v_mul_f64 v[86:87], v[92:93], s[8:9]
	s_mov_b32 s3, 0x3fac98ee
	v_mul_f64 v[88:89], v[94:95], s[10:11]
	s_mov_b32 s9, 0xbfd5d0dc
	s_mov_b32 s8, 0xb247c609
	v_add_f64 v[36:37], v[90:91], v[36:37]
	v_add_f64 v[18:19], v[58:59], v[60:61]
	;; [unrolled: 1-line block ×3, first 2 shown]
	v_mul_f64 v[66:67], v[64:65], s[2:3]
	v_add_f64 v[16:17], v[56:57], v[62:63]
	v_mul_f64 v[70:71], v[96:97], s[10:11]
	v_mul_f64 v[56:57], v[98:99], s[2:3]
	v_fma_f64 v[90:91], v[100:101], s[8:9], v[68:69]
	v_fma_f64 v[64:65], v[64:65], s[2:3], v[72:73]
	v_fma_f64 v[92:93], v[102:103], s[8:9], v[74:75]
	s_mov_b32 s9, 0x3fd5d0dc
	v_fma_f64 v[72:73], v[82:83], s[18:19], -v[72:73]
	v_fma_f64 v[104:105], v[84:85], s[18:19], -v[86:87]
	s_mov_b32 s19, 0x3fe77f67
	v_fma_f64 v[68:69], v[94:95], s[10:11], -v[68:69]
	v_fma_f64 v[88:89], v[100:101], s[8:9], -v[88:89]
	;; [unrolled: 1-line block ×3, first 2 shown]
	v_fma_f64 v[60:61], v[60:61], s[16:17], v[18:19]
	v_add_f64 v[38:39], v[58:59], v[38:39]
	v_fma_f64 v[58:59], v[82:83], s[18:19], -v[66:67]
	v_fma_f64 v[66:67], v[98:99], s[2:3], v[86:87]
	v_fma_f64 v[62:63], v[62:63], s[16:17], v[16:17]
	v_fma_f64 v[70:71], v[102:103], s[8:9], -v[70:71]
	v_fma_f64 v[56:57], v[84:85], s[18:19], -v[56:57]
	s_mov_b32 s2, 0x37c3f68c
	s_mov_b32 s3, 0xbfdc38aa
	v_fma_f64 v[82:83], v[36:37], s[2:3], v[90:91]
	v_fma_f64 v[68:69], v[36:37], s[2:3], v[68:69]
	;; [unrolled: 1-line block ×3, first 2 shown]
	v_add_f64 v[64:65], v[64:65], v[60:61]
	v_add_f64 v[72:73], v[72:73], v[60:61]
	v_fma_f64 v[84:85], v[38:39], s[2:3], v[92:93]
	v_add_f64 v[60:61], v[58:59], v[60:61]
	v_add_f64 v[90:91], v[66:67], v[62:63]
	v_fma_f64 v[88:89], v[38:39], s[2:3], v[70:71]
	v_add_f64 v[92:93], v[104:105], v[62:63]
	v_fma_f64 v[86:87], v[38:39], s[2:3], v[74:75]
	v_add_f64 v[56:57], v[56:57], v[62:63]
	v_add_f64 v[74:75], v[64:65], -v[82:83]
	v_add_f64 v[58:59], v[36:37], v[72:73]
	v_add_f64 v[70:71], v[72:73], -v[36:37]
	v_add_f64 v[62:63], v[60:61], -v[68:69]
	v_add_f64 v[72:73], v[90:91], v[84:85]
	v_add_f64 v[66:67], v[68:69], v[60:61]
	;; [unrolled: 1-line block ×4, first 2 shown]
	v_add_f64 v[64:65], v[56:57], -v[86:87]
	v_add_f64 v[60:61], v[56:57], v[86:87]
	v_add_f64 v[56:57], v[92:93], -v[88:89]
	v_add_f64 v[36:37], v[90:91], -v[84:85]
	v_mov_b32_e32 v82, 4
	v_lshlrev_b32_sdwa v79, v82, v79 dst_sel:DWORD dst_unused:UNUSED_PAD src0_sel:DWORD src1_sel:WORD_0
	ds_write_b128 v79, v[16:19]
	ds_write_b128 v79, v[72:75] offset:16
	ds_write_b128 v79, v[68:71] offset:32
	;; [unrolled: 1-line block ×6, first 2 shown]
.LBB0_13:
	s_or_b32 exec_lo, exec_lo, s0
	s_waitcnt lgkmcnt(0)
	s_barrier
	buffer_gl0_inv
	ds_read_b128 v[16:19], v77 offset:2800
	ds_read_b128 v[36:39], v77 offset:5600
	;; [unrolled: 1-line block ×4, first 2 shown]
	s_mov_b32 s0, 0x134454ff
	s_mov_b32 s1, 0xbfee6f0e
	;; [unrolled: 1-line block ×10, first 2 shown]
	s_waitcnt lgkmcnt(3)
	v_mul_f64 v[64:65], v[14:15], v[18:19]
	s_waitcnt lgkmcnt(2)
	v_mul_f64 v[66:67], v[10:11], v[38:39]
	;; [unrolled: 2-line block ×3, first 2 shown]
	v_mul_f64 v[10:11], v[10:11], v[36:37]
	v_mul_f64 v[6:7], v[6:7], v[56:57]
	;; [unrolled: 1-line block ×3, first 2 shown]
	s_waitcnt lgkmcnt(0)
	v_mul_f64 v[70:71], v[2:3], v[62:63]
	v_mul_f64 v[2:3], v[2:3], v[60:61]
	v_fma_f64 v[16:17], v[12:13], v[16:17], v[64:65]
	v_fma_f64 v[36:37], v[8:9], v[36:37], v[66:67]
	;; [unrolled: 1-line block ×3, first 2 shown]
	v_fma_f64 v[8:9], v[8:9], v[38:39], -v[10:11]
	v_fma_f64 v[4:5], v[4:5], v[58:59], -v[6:7]
	v_fma_f64 v[12:13], v[12:13], v[18:19], -v[14:15]
	v_fma_f64 v[14:15], v[0:1], v[60:61], v[70:71]
	v_fma_f64 v[6:7], v[0:1], v[62:63], -v[2:3]
	ds_read_b128 v[0:3], v77
	s_waitcnt lgkmcnt(0)
	s_barrier
	buffer_gl0_inv
	v_add_f64 v[10:11], v[36:37], v[56:57]
	v_add_f64 v[38:39], v[8:9], v[4:5]
	v_add_f64 v[64:65], v[8:9], -v[4:5]
	v_add_f64 v[18:19], v[16:17], v[14:15]
	v_add_f64 v[58:59], v[12:13], v[6:7]
	;; [unrolled: 1-line block ×4, first 2 shown]
	v_add_f64 v[62:63], v[12:13], -v[6:7]
	v_add_f64 v[68:69], v[16:17], -v[14:15]
	;; [unrolled: 1-line block ×8, first 2 shown]
	v_fma_f64 v[10:11], v[10:11], -0.5, v[0:1]
	v_fma_f64 v[38:39], v[38:39], -0.5, v[2:3]
	;; [unrolled: 1-line block ×3, first 2 shown]
	v_add_f64 v[18:19], v[36:37], -v[56:57]
	v_fma_f64 v[2:3], v[58:59], -0.5, v[2:3]
	v_add_f64 v[58:59], v[16:17], -v[36:37]
	v_add_f64 v[16:17], v[36:37], -v[16:17]
	v_add_f64 v[36:37], v[60:61], v[36:37]
	v_add_f64 v[8:9], v[66:67], v[8:9]
	v_fma_f64 v[60:61], v[62:63], s[0:1], v[10:11]
	v_fma_f64 v[10:11], v[62:63], s[2:3], v[10:11]
	;; [unrolled: 1-line block ×8, first 2 shown]
	v_add_f64 v[16:17], v[16:17], v[72:73]
	v_add_f64 v[72:73], v[12:13], v[84:85]
	;; [unrolled: 1-line block ×6, first 2 shown]
	v_fma_f64 v[8:9], v[64:65], s[8:9], v[60:61]
	v_fma_f64 v[10:11], v[64:65], s[10:11], v[10:11]
	;; [unrolled: 1-line block ×8, first 2 shown]
	v_add_f64 v[0:1], v[12:13], v[14:15]
	v_add_f64 v[2:3], v[4:5], v[6:7]
	v_fma_f64 v[4:5], v[58:59], s[16:17], v[8:9]
	v_fma_f64 v[8:9], v[58:59], s[16:17], v[10:11]
	;; [unrolled: 1-line block ×8, first 2 shown]
	ds_write_b128 v80, v[0:3]
	ds_write_b128 v80, v[4:7] offset:112
	ds_write_b128 v80, v[12:15] offset:224
	;; [unrolled: 1-line block ×4, first 2 shown]
	s_waitcnt lgkmcnt(0)
	s_barrier
	buffer_gl0_inv
	ds_read_b128 v[0:3], v77 offset:2800
	ds_read_b128 v[4:7], v77 offset:5600
	;; [unrolled: 1-line block ×4, first 2 shown]
	s_waitcnt lgkmcnt(3)
	v_mul_f64 v[16:17], v[34:35], v[2:3]
	s_waitcnt lgkmcnt(2)
	v_mul_f64 v[18:19], v[30:31], v[6:7]
	;; [unrolled: 2-line block ×4, first 2 shown]
	v_mul_f64 v[30:31], v[30:31], v[4:5]
	v_mul_f64 v[26:27], v[26:27], v[8:9]
	;; [unrolled: 1-line block ×4, first 2 shown]
	v_fma_f64 v[16:17], v[32:33], v[0:1], v[16:17]
	v_fma_f64 v[4:5], v[28:29], v[4:5], v[18:19]
	;; [unrolled: 1-line block ×4, first 2 shown]
	v_fma_f64 v[6:7], v[28:29], v[6:7], -v[30:31]
	v_fma_f64 v[10:11], v[24:25], v[10:11], -v[26:27]
	;; [unrolled: 1-line block ×4, first 2 shown]
	ds_read_b128 v[0:3], v77
	s_waitcnt lgkmcnt(0)
	s_barrier
	buffer_gl0_inv
	v_add_f64 v[20:21], v[4:5], v[8:9]
	v_add_f64 v[22:23], v[16:17], v[12:13]
	v_add_f64 v[36:37], v[16:17], -v[12:13]
	v_add_f64 v[24:25], v[6:7], v[10:11]
	v_add_f64 v[28:29], v[0:1], v[16:17]
	;; [unrolled: 1-line block ×4, first 2 shown]
	v_add_f64 v[30:31], v[18:19], -v[14:15]
	v_add_f64 v[32:33], v[6:7], -v[10:11]
	;; [unrolled: 1-line block ×8, first 2 shown]
	v_fma_f64 v[20:21], v[20:21], -0.5, v[0:1]
	v_fma_f64 v[0:1], v[22:23], -0.5, v[0:1]
	v_add_f64 v[22:23], v[4:5], -v[8:9]
	v_fma_f64 v[24:25], v[24:25], -0.5, v[2:3]
	v_fma_f64 v[2:3], v[26:27], -0.5, v[2:3]
	v_add_f64 v[26:27], v[16:17], -v[4:5]
	v_add_f64 v[16:17], v[4:5], -v[16:17]
	v_add_f64 v[4:5], v[28:29], v[4:5]
	v_add_f64 v[6:7], v[34:35], v[6:7]
	;; [unrolled: 1-line block ×3, first 2 shown]
	v_fma_f64 v[28:29], v[30:31], s[0:1], v[20:21]
	v_fma_f64 v[20:21], v[30:31], s[2:3], v[20:21]
	;; [unrolled: 1-line block ×8, first 2 shown]
	v_add_f64 v[4:5], v[4:5], v[8:9]
	v_add_f64 v[6:7], v[6:7], v[10:11]
	;; [unrolled: 1-line block ×5, first 2 shown]
	v_fma_f64 v[8:9], v[32:33], s[8:9], v[28:29]
	v_fma_f64 v[10:11], v[32:33], s[10:11], v[20:21]
	;; [unrolled: 1-line block ×8, first 2 shown]
	v_add_f64 v[0:1], v[4:5], v[12:13]
	v_add_f64 v[2:3], v[6:7], v[14:15]
	v_fma_f64 v[4:5], v[26:27], s[16:17], v[8:9]
	v_fma_f64 v[8:9], v[26:27], s[16:17], v[10:11]
	;; [unrolled: 1-line block ×8, first 2 shown]
	ds_write_b128 v81, v[0:3]
	ds_write_b128 v81, v[4:7] offset:560
	ds_write_b128 v81, v[12:15] offset:1120
	;; [unrolled: 1-line block ×4, first 2 shown]
	s_waitcnt lgkmcnt(0)
	s_barrier
	buffer_gl0_inv
	ds_read_b128 v[0:3], v77 offset:2800
	ds_read_b128 v[4:7], v77 offset:5600
	;; [unrolled: 1-line block ×4, first 2 shown]
	s_waitcnt lgkmcnt(3)
	v_mul_f64 v[16:17], v[42:43], v[2:3]
	s_waitcnt lgkmcnt(2)
	v_mul_f64 v[18:19], v[50:51], v[6:7]
	;; [unrolled: 2-line block ×4, first 2 shown]
	v_mul_f64 v[26:27], v[50:51], v[4:5]
	v_mul_f64 v[28:29], v[54:55], v[8:9]
	;; [unrolled: 1-line block ×4, first 2 shown]
	v_fma_f64 v[16:17], v[40:41], v[0:1], v[16:17]
	v_fma_f64 v[4:5], v[48:49], v[4:5], v[18:19]
	;; [unrolled: 1-line block ×4, first 2 shown]
	v_fma_f64 v[6:7], v[48:49], v[6:7], -v[26:27]
	v_fma_f64 v[10:11], v[52:53], v[10:11], -v[28:29]
	;; [unrolled: 1-line block ×4, first 2 shown]
	ds_read_b128 v[0:3], v77
	v_add_f64 v[20:21], v[4:5], v[8:9]
	v_add_f64 v[22:23], v[16:17], v[12:13]
	v_add_f64 v[36:37], v[16:17], -v[12:13]
	v_add_f64 v[24:25], v[6:7], v[10:11]
	s_waitcnt lgkmcnt(0)
	v_add_f64 v[28:29], v[0:1], v[16:17]
	v_add_f64 v[26:27], v[18:19], v[14:15]
	;; [unrolled: 1-line block ×3, first 2 shown]
	v_add_f64 v[30:31], v[18:19], -v[14:15]
	v_add_f64 v[32:33], v[6:7], -v[10:11]
	;; [unrolled: 1-line block ×8, first 2 shown]
	v_fma_f64 v[20:21], v[20:21], -0.5, v[0:1]
	v_fma_f64 v[0:1], v[22:23], -0.5, v[0:1]
	v_add_f64 v[22:23], v[4:5], -v[8:9]
	v_fma_f64 v[24:25], v[24:25], -0.5, v[2:3]
	v_fma_f64 v[2:3], v[26:27], -0.5, v[2:3]
	v_add_f64 v[26:27], v[16:17], -v[4:5]
	v_add_f64 v[16:17], v[4:5], -v[16:17]
	v_add_f64 v[4:5], v[28:29], v[4:5]
	v_add_f64 v[6:7], v[34:35], v[6:7]
	;; [unrolled: 1-line block ×3, first 2 shown]
	v_fma_f64 v[28:29], v[30:31], s[0:1], v[20:21]
	v_fma_f64 v[20:21], v[30:31], s[2:3], v[20:21]
	;; [unrolled: 1-line block ×8, first 2 shown]
	v_add_f64 v[4:5], v[4:5], v[8:9]
	v_add_f64 v[6:7], v[6:7], v[10:11]
	;; [unrolled: 1-line block ×5, first 2 shown]
	v_fma_f64 v[8:9], v[32:33], s[8:9], v[28:29]
	v_fma_f64 v[10:11], v[32:33], s[10:11], v[20:21]
	;; [unrolled: 1-line block ×8, first 2 shown]
	v_add_f64 v[0:1], v[4:5], v[12:13]
	v_add_f64 v[2:3], v[6:7], v[14:15]
	v_fma_f64 v[4:5], v[26:27], s[16:17], v[8:9]
	v_fma_f64 v[8:9], v[26:27], s[16:17], v[10:11]
	;; [unrolled: 1-line block ×8, first 2 shown]
	ds_write_b128 v77, v[0:3]
	ds_write_b128 v77, v[4:7] offset:2800
	ds_write_b128 v77, v[12:15] offset:5600
	;; [unrolled: 1-line block ×4, first 2 shown]
	s_waitcnt lgkmcnt(0)
	s_barrier
	buffer_gl0_inv
	s_and_b32 exec_lo, exec_lo, vcc_lo
	s_cbranch_execz .LBB0_15
; %bb.14:
	v_add_co_u32 v18, s0, s14, v77
	v_add_co_ci_u32_e64 v19, null, s15, 0, s0
	v_mad_u64_u32 v[56:57], null, s6, v76, 0
	v_add_co_u32 v8, vcc_lo, 0x800, v18
	v_add_co_ci_u32_e32 v9, vcc_lo, 0, v19, vcc_lo
	v_add_co_u32 v12, vcc_lo, 0x1000, v18
	v_add_co_ci_u32_e32 v13, vcc_lo, 0, v19, vcc_lo
	;; [unrolled: 2-line block ×4, first 2 shown]
	v_add_co_u32 v24, vcc_lo, 0x2800, v18
	s_clause 0x3
	global_load_dwordx4 v[0:3], v77, s[14:15]
	global_load_dwordx4 v[4:7], v77, s[14:15] offset:2000
	global_load_dwordx4 v[8:11], v[8:9], off offset:1952
	global_load_dwordx4 v[12:15], v[12:13], off offset:1904
	v_add_co_ci_u32_e32 v25, vcc_lo, 0, v19, vcc_lo
	s_clause 0x2
	global_load_dwordx4 v[16:19], v[16:17], off offset:1856
	global_load_dwordx4 v[20:23], v[20:21], off offset:1808
	;; [unrolled: 1-line block ×3, first 2 shown]
	v_mad_u64_u32 v[58:59], null, s4, v78, 0
	v_mov_b32_e32 v44, v57
	ds_read_b128 v[28:31], v77
	ds_read_b128 v[32:35], v77 offset:2000
	ds_read_b128 v[36:39], v77 offset:4000
	;; [unrolled: 1-line block ×3, first 2 shown]
	s_mul_i32 s0, s5, 0x7d0
	s_mul_hi_u32 s1, s4, 0x7d0
	s_mul_i32 s2, s4, 0x7d0
	v_mov_b32_e32 v45, v59
	s_add_i32 s3, s1, s0
	s_mov_b32 s0, 0x835d548e
	s_mov_b32 s1, 0x3f52b97d
	v_mad_u64_u32 v[59:60], null, s7, v76, v[44:45]
	v_mad_u64_u32 v[60:61], null, s5, v78, v[45:46]
	ds_read_b128 v[44:47], v77 offset:8000
	ds_read_b128 v[48:51], v77 offset:10000
	;; [unrolled: 1-line block ×3, first 2 shown]
	v_mov_b32_e32 v57, v59
	v_mov_b32_e32 v59, v60
	v_lshlrev_b64 v[56:57], 4, v[56:57]
	v_lshlrev_b64 v[58:59], 4, v[58:59]
	v_add_co_u32 v56, vcc_lo, s12, v56
	v_add_co_ci_u32_e32 v57, vcc_lo, s13, v57, vcc_lo
	v_add_co_u32 v56, vcc_lo, v56, v58
	v_add_co_ci_u32_e32 v57, vcc_lo, v57, v59, vcc_lo
	s_waitcnt vmcnt(6) lgkmcnt(6)
	v_mul_f64 v[60:61], v[30:31], v[2:3]
	v_mul_f64 v[2:3], v[28:29], v[2:3]
	s_waitcnt vmcnt(5) lgkmcnt(5)
	v_mul_f64 v[62:63], v[34:35], v[6:7]
	v_mul_f64 v[6:7], v[32:33], v[6:7]
	;; [unrolled: 3-line block ×7, first 2 shown]
	v_fma_f64 v[28:29], v[28:29], v[0:1], v[60:61]
	v_fma_f64 v[2:3], v[0:1], v[30:31], -v[2:3]
	v_fma_f64 v[30:31], v[32:33], v[4:5], v[62:63]
	v_fma_f64 v[6:7], v[4:5], v[34:35], -v[6:7]
	v_fma_f64 v[32:33], v[36:37], v[8:9], v[64:65]
	v_fma_f64 v[10:11], v[8:9], v[38:39], -v[10:11]
	v_fma_f64 v[34:35], v[40:41], v[12:13], v[66:67]
	v_fma_f64 v[14:15], v[12:13], v[42:43], -v[14:15]
	v_fma_f64 v[36:37], v[44:45], v[16:17], v[68:69]
	v_fma_f64 v[18:19], v[16:17], v[46:47], -v[18:19]
	v_fma_f64 v[38:39], v[48:49], v[20:21], v[70:71]
	v_fma_f64 v[22:23], v[20:21], v[50:51], -v[22:23]
	v_fma_f64 v[40:41], v[52:53], v[24:25], v[72:73]
	v_fma_f64 v[26:27], v[24:25], v[54:55], -v[26:27]
	v_add_co_u32 v42, vcc_lo, v56, s2
	v_add_co_ci_u32_e32 v43, vcc_lo, s3, v57, vcc_lo
	v_add_co_u32 v44, vcc_lo, v42, s2
	v_add_co_ci_u32_e32 v45, vcc_lo, s3, v43, vcc_lo
	v_mul_f64 v[0:1], v[28:29], s[0:1]
	v_mul_f64 v[2:3], v[2:3], s[0:1]
	;; [unrolled: 1-line block ×12, first 2 shown]
	v_add_co_u32 v28, vcc_lo, v44, s2
	v_mul_f64 v[24:25], v[40:41], s[0:1]
	v_mul_f64 v[26:27], v[26:27], s[0:1]
	v_add_co_ci_u32_e32 v29, vcc_lo, s3, v45, vcc_lo
	v_add_co_u32 v30, vcc_lo, v28, s2
	v_add_co_ci_u32_e32 v31, vcc_lo, s3, v29, vcc_lo
	v_add_co_u32 v32, vcc_lo, v30, s2
	;; [unrolled: 2-line block ×3, first 2 shown]
	v_add_co_ci_u32_e32 v35, vcc_lo, s3, v33, vcc_lo
	global_store_dwordx4 v[56:57], v[0:3], off
	global_store_dwordx4 v[42:43], v[4:7], off
	global_store_dwordx4 v[44:45], v[8:11], off
	global_store_dwordx4 v[28:29], v[12:15], off
	global_store_dwordx4 v[30:31], v[16:19], off
	global_store_dwordx4 v[32:33], v[20:23], off
	global_store_dwordx4 v[34:35], v[24:27], off
.LBB0_15:
	s_endpgm
	.section	.rodata,"a",@progbits
	.p2align	6, 0x0
	.amdhsa_kernel bluestein_single_back_len875_dim1_dp_op_CI_CI
		.amdhsa_group_segment_fixed_size 14000
		.amdhsa_private_segment_fixed_size 0
		.amdhsa_kernarg_size 104
		.amdhsa_user_sgpr_count 6
		.amdhsa_user_sgpr_private_segment_buffer 1
		.amdhsa_user_sgpr_dispatch_ptr 0
		.amdhsa_user_sgpr_queue_ptr 0
		.amdhsa_user_sgpr_kernarg_segment_ptr 1
		.amdhsa_user_sgpr_dispatch_id 0
		.amdhsa_user_sgpr_flat_scratch_init 0
		.amdhsa_user_sgpr_private_segment_size 0
		.amdhsa_wavefront_size32 1
		.amdhsa_uses_dynamic_stack 0
		.amdhsa_system_sgpr_private_segment_wavefront_offset 0
		.amdhsa_system_sgpr_workgroup_id_x 1
		.amdhsa_system_sgpr_workgroup_id_y 0
		.amdhsa_system_sgpr_workgroup_id_z 0
		.amdhsa_system_sgpr_workgroup_info 0
		.amdhsa_system_vgpr_workitem_id 0
		.amdhsa_next_free_vgpr 154
		.amdhsa_next_free_sgpr 20
		.amdhsa_reserve_vcc 1
		.amdhsa_reserve_flat_scratch 0
		.amdhsa_float_round_mode_32 0
		.amdhsa_float_round_mode_16_64 0
		.amdhsa_float_denorm_mode_32 3
		.amdhsa_float_denorm_mode_16_64 3
		.amdhsa_dx10_clamp 1
		.amdhsa_ieee_mode 1
		.amdhsa_fp16_overflow 0
		.amdhsa_workgroup_processor_mode 1
		.amdhsa_memory_ordered 1
		.amdhsa_forward_progress 0
		.amdhsa_shared_vgpr_count 0
		.amdhsa_exception_fp_ieee_invalid_op 0
		.amdhsa_exception_fp_denorm_src 0
		.amdhsa_exception_fp_ieee_div_zero 0
		.amdhsa_exception_fp_ieee_overflow 0
		.amdhsa_exception_fp_ieee_underflow 0
		.amdhsa_exception_fp_ieee_inexact 0
		.amdhsa_exception_int_div_zero 0
	.end_amdhsa_kernel
	.text
.Lfunc_end0:
	.size	bluestein_single_back_len875_dim1_dp_op_CI_CI, .Lfunc_end0-bluestein_single_back_len875_dim1_dp_op_CI_CI
                                        ; -- End function
	.section	.AMDGPU.csdata,"",@progbits
; Kernel info:
; codeLenInByte = 9036
; NumSgprs: 22
; NumVgprs: 154
; ScratchSize: 0
; MemoryBound: 0
; FloatMode: 240
; IeeeMode: 1
; LDSByteSize: 14000 bytes/workgroup (compile time only)
; SGPRBlocks: 2
; VGPRBlocks: 19
; NumSGPRsForWavesPerEU: 22
; NumVGPRsForWavesPerEU: 154
; Occupancy: 6
; WaveLimiterHint : 1
; COMPUTE_PGM_RSRC2:SCRATCH_EN: 0
; COMPUTE_PGM_RSRC2:USER_SGPR: 6
; COMPUTE_PGM_RSRC2:TRAP_HANDLER: 0
; COMPUTE_PGM_RSRC2:TGID_X_EN: 1
; COMPUTE_PGM_RSRC2:TGID_Y_EN: 0
; COMPUTE_PGM_RSRC2:TGID_Z_EN: 0
; COMPUTE_PGM_RSRC2:TIDIG_COMP_CNT: 0
	.text
	.p2alignl 6, 3214868480
	.fill 48, 4, 3214868480
	.type	__hip_cuid_cb204ba8fc06d1cb,@object ; @__hip_cuid_cb204ba8fc06d1cb
	.section	.bss,"aw",@nobits
	.globl	__hip_cuid_cb204ba8fc06d1cb
__hip_cuid_cb204ba8fc06d1cb:
	.byte	0                               ; 0x0
	.size	__hip_cuid_cb204ba8fc06d1cb, 1

	.ident	"AMD clang version 19.0.0git (https://github.com/RadeonOpenCompute/llvm-project roc-6.4.0 25133 c7fe45cf4b819c5991fe208aaa96edf142730f1d)"
	.section	".note.GNU-stack","",@progbits
	.addrsig
	.addrsig_sym __hip_cuid_cb204ba8fc06d1cb
	.amdgpu_metadata
---
amdhsa.kernels:
  - .args:
      - .actual_access:  read_only
        .address_space:  global
        .offset:         0
        .size:           8
        .value_kind:     global_buffer
      - .actual_access:  read_only
        .address_space:  global
        .offset:         8
        .size:           8
        .value_kind:     global_buffer
      - .actual_access:  read_only
        .address_space:  global
        .offset:         16
        .size:           8
        .value_kind:     global_buffer
      - .actual_access:  read_only
        .address_space:  global
        .offset:         24
        .size:           8
        .value_kind:     global_buffer
      - .actual_access:  read_only
        .address_space:  global
        .offset:         32
        .size:           8
        .value_kind:     global_buffer
      - .offset:         40
        .size:           8
        .value_kind:     by_value
      - .address_space:  global
        .offset:         48
        .size:           8
        .value_kind:     global_buffer
      - .address_space:  global
        .offset:         56
        .size:           8
        .value_kind:     global_buffer
      - .address_space:  global
        .offset:         64
        .size:           8
        .value_kind:     global_buffer
      - .address_space:  global
        .offset:         72
        .size:           8
        .value_kind:     global_buffer
      - .offset:         80
        .size:           4
        .value_kind:     by_value
      - .address_space:  global
        .offset:         88
        .size:           8
        .value_kind:     global_buffer
      - .address_space:  global
        .offset:         96
        .size:           8
        .value_kind:     global_buffer
    .group_segment_fixed_size: 14000
    .kernarg_segment_align: 8
    .kernarg_segment_size: 104
    .language:       OpenCL C
    .language_version:
      - 2
      - 0
    .max_flat_workgroup_size: 175
    .name:           bluestein_single_back_len875_dim1_dp_op_CI_CI
    .private_segment_fixed_size: 0
    .sgpr_count:     22
    .sgpr_spill_count: 0
    .symbol:         bluestein_single_back_len875_dim1_dp_op_CI_CI.kd
    .uniform_work_group_size: 1
    .uses_dynamic_stack: false
    .vgpr_count:     154
    .vgpr_spill_count: 0
    .wavefront_size: 32
    .workgroup_processor_mode: 1
amdhsa.target:   amdgcn-amd-amdhsa--gfx1030
amdhsa.version:
  - 1
  - 2
...

	.end_amdgpu_metadata
